;; amdgpu-corpus repo=ROCm/rocFFT kind=compiled arch=gfx906 opt=O3
	.text
	.amdgcn_target "amdgcn-amd-amdhsa--gfx906"
	.amdhsa_code_object_version 6
	.protected	fft_rtc_fwd_len100_factors_5_5_4_wgs_200_tpt_25_halfLds_sp_op_CI_CI_sbcc_twdbase6_3step_dirReg_intrinsicRead ; -- Begin function fft_rtc_fwd_len100_factors_5_5_4_wgs_200_tpt_25_halfLds_sp_op_CI_CI_sbcc_twdbase6_3step_dirReg_intrinsicRead
	.globl	fft_rtc_fwd_len100_factors_5_5_4_wgs_200_tpt_25_halfLds_sp_op_CI_CI_sbcc_twdbase6_3step_dirReg_intrinsicRead
	.p2align	8
	.type	fft_rtc_fwd_len100_factors_5_5_4_wgs_200_tpt_25_halfLds_sp_op_CI_CI_sbcc_twdbase6_3step_dirReg_intrinsicRead,@function
fft_rtc_fwd_len100_factors_5_5_4_wgs_200_tpt_25_halfLds_sp_op_CI_CI_sbcc_twdbase6_3step_dirReg_intrinsicRead: ; @fft_rtc_fwd_len100_factors_5_5_4_wgs_200_tpt_25_halfLds_sp_op_CI_CI_sbcc_twdbase6_3step_dirReg_intrinsicRead
; %bb.0:
	s_load_dwordx8 s[8:15], s[4:5], 0x8
	s_load_dwordx2 s[2:3], s[4:5], 0x28
	s_movk_i32 s0, 0xc0
	v_cmp_gt_u32_e32 vcc, s0, v0
	s_and_saveexec_b64 s[0:1], vcc
	s_cbranch_execz .LBB0_2
; %bb.1:
	v_lshlrev_b32_e32 v3, 3, v0
	s_waitcnt lgkmcnt(0)
	global_load_dwordx2 v[1:2], v3, s[8:9]
	v_add_u32_e32 v3, 0, v3
	s_waitcnt vmcnt(0)
	ds_write_b64 v3, v[1:2] offset:3200
.LBB0_2:
	s_or_b64 exec, exec, s[0:1]
	s_waitcnt lgkmcnt(0)
	s_load_dwordx2 s[30:31], s[12:13], 0x8
	s_mov_b32 s7, 0
	s_mov_b64 s[28:29], 0
	s_waitcnt lgkmcnt(0)
	s_add_u32 s0, s30, -1
	s_addc_u32 s1, s31, -1
	s_lshr_b64 s[0:1], s[0:1], 3
	s_add_u32 s34, s0, 1
	s_addc_u32 s35, s1, 0
	v_mov_b32_e32 v1, s34
	v_mov_b32_e32 v2, s35
	v_cmp_lt_u64_e32 vcc, s[6:7], v[1:2]
	s_cbranch_vccnz .LBB0_4
; %bb.3:
	v_cvt_f32_u32_e32 v1, s34
	s_sub_i32 s0, 0, s34
	s_mov_b32 s29, s7
	v_rcp_iflag_f32_e32 v1, v1
	v_mul_f32_e32 v1, 0x4f7ffffe, v1
	v_cvt_u32_f32_e32 v1, v1
	v_readfirstlane_b32 s1, v1
	s_mul_i32 s0, s0, s1
	s_mul_hi_u32 s0, s1, s0
	s_add_i32 s1, s1, s0
	s_mul_hi_u32 s0, s6, s1
	s_mul_i32 s8, s0, s34
	s_sub_i32 s8, s6, s8
	s_add_i32 s1, s0, 1
	s_sub_i32 s9, s8, s34
	s_cmp_ge_u32 s8, s34
	s_cselect_b32 s0, s1, s0
	s_cselect_b32 s8, s9, s8
	s_add_i32 s1, s0, 1
	s_cmp_ge_u32 s8, s34
	s_cselect_b32 s28, s1, s0
.LBB0_4:
	s_load_dwordx4 s[20:23], s[4:5], 0x60
	s_load_dwordx2 s[8:9], s[4:5], 0x0
	s_load_dwordx4 s[24:27], s[14:15], 0x0
	s_mul_i32 s0, s28, s35
	s_mul_hi_u32 s1, s28, s34
	s_add_i32 s1, s1, s0
	s_mul_i32 s0, s28, s34
	s_sub_u32 s0, s6, s0
	s_subb_u32 s1, 0, s1
	v_mov_b32_e32 v1, s0
	s_load_dwordx4 s[16:19], s[2:3], 0x0
	v_alignbit_b32 v1, s1, v1, 29
	s_waitcnt lgkmcnt(0)
	v_mul_lo_u32 v2, s26, v1
	s_lshl_b64 s[4:5], s[0:1], 3
	s_mul_hi_u32 s0, s26, s4
	v_mul_lo_u32 v1, s18, v1
	v_add_u32_e32 v2, s0, v2
	s_mul_i32 s0, s27, s4
	v_add_u32_e32 v6, s0, v2
	s_mul_i32 s0, s26, s4
	v_mov_b32_e32 v5, s0
	s_mul_hi_u32 s0, s18, s4
	v_add_u32_e32 v1, s0, v1
	s_mul_i32 s0, s19, s4
	v_add_u32_e32 v2, s0, v1
	v_cmp_lt_u64_e64 s[0:1], s[10:11], 3
	s_mul_i32 s25, s18, s4
	v_mov_b32_e32 v1, s25
	s_and_b64 vcc, exec, s[0:1]
	s_cbranch_vccnz .LBB0_13
; %bb.5:
	s_add_u32 s36, s2, 16
	s_addc_u32 s37, s3, 0
	s_add_u32 s38, s14, 16
	s_addc_u32 s39, s15, 0
	s_add_u32 s12, s12, 16
	v_mov_b32_e32 v3, s10
	s_addc_u32 s13, s13, 0
	s_mov_b64 s[40:41], 2
	s_mov_b32 s42, 0
	v_mov_b32_e32 v4, s11
	s_branch .LBB0_7
.LBB0_6:                                ;   in Loop: Header=BB0_7 Depth=1
	s_mul_i32 s25, s44, s35
	s_mul_hi_u32 s27, s44, s34
	s_add_i32 s25, s27, s25
	s_mul_i32 s27, s45, s34
	s_add_i32 s35, s25, s27
	s_mul_i32 s25, s0, s45
	s_mul_hi_u32 s27, s0, s44
	s_load_dwordx2 s[46:47], s[38:39], 0x0
	s_add_i32 s25, s27, s25
	s_mul_i32 s27, s1, s44
	s_add_i32 s25, s25, s27
	s_mul_i32 s27, s0, s44
	s_sub_u32 s27, s28, s27
	s_subb_u32 s25, s29, s25
	s_waitcnt lgkmcnt(0)
	s_mul_i32 s28, s46, s25
	s_mul_hi_u32 s29, s46, s27
	s_add_i32 s28, s29, s28
	s_mul_i32 s29, s47, s27
	s_add_i32 s28, s28, s29
	v_mov_b32_e32 v7, s28
	s_load_dwordx2 s[28:29], s[36:37], 0x0
	s_mul_i32 s33, s46, s27
	v_add_co_u32_e32 v5, vcc, s33, v5
	v_addc_co_u32_e32 v6, vcc, v7, v6, vcc
	s_waitcnt lgkmcnt(0)
	s_mul_i32 s25, s28, s25
	s_mul_hi_u32 s33, s28, s27
	s_add_i32 s25, s33, s25
	s_mul_i32 s29, s29, s27
	s_add_i32 s25, s25, s29
	s_add_u32 s40, s40, 1
	s_addc_u32 s41, s41, 0
	s_mul_i32 s27, s28, s27
	s_add_u32 s36, s36, 8
	v_mov_b32_e32 v7, s25
	v_add_co_u32_e32 v1, vcc, s27, v1
	s_addc_u32 s37, s37, 0
	v_addc_co_u32_e32 v2, vcc, v7, v2, vcc
	s_add_u32 s38, s38, 8
	s_addc_u32 s39, s39, 0
	v_cmp_ge_u64_e32 vcc, s[40:41], v[3:4]
	s_add_u32 s12, s12, 8
	s_mul_i32 s34, s44, s34
	s_addc_u32 s13, s13, 0
	s_mov_b64 s[28:29], s[0:1]
	s_cbranch_vccnz .LBB0_11
.LBB0_7:                                ; =>This Inner Loop Header: Depth=1
	s_load_dwordx2 s[44:45], s[12:13], 0x0
	s_waitcnt lgkmcnt(0)
	s_or_b64 s[0:1], s[28:29], s[44:45]
	s_mov_b32 s43, s1
	s_cmp_lg_u64 s[42:43], 0
	s_cbranch_scc0 .LBB0_9
; %bb.8:                                ;   in Loop: Header=BB0_7 Depth=1
	v_cvt_f32_u32_e32 v7, s44
	v_cvt_f32_u32_e32 v8, s45
	s_sub_u32 s0, 0, s44
	s_subb_u32 s1, 0, s45
	v_mac_f32_e32 v7, 0x4f800000, v8
	v_rcp_f32_e32 v7, v7
	v_mul_f32_e32 v7, 0x5f7ffffc, v7
	v_mul_f32_e32 v8, 0x2f800000, v7
	v_trunc_f32_e32 v8, v8
	v_mac_f32_e32 v7, 0xcf800000, v8
	v_cvt_u32_f32_e32 v8, v8
	v_cvt_u32_f32_e32 v7, v7
	v_readfirstlane_b32 s25, v8
	v_readfirstlane_b32 s27, v7
	s_mul_i32 s33, s0, s25
	s_mul_hi_u32 s46, s0, s27
	s_mul_i32 s43, s1, s27
	s_add_i32 s33, s46, s33
	s_mul_i32 s47, s0, s27
	s_add_i32 s33, s33, s43
	s_mul_hi_u32 s43, s27, s33
	s_mul_i32 s46, s27, s33
	s_mul_hi_u32 s27, s27, s47
	s_add_u32 s27, s27, s46
	s_addc_u32 s43, 0, s43
	s_mul_hi_u32 s48, s25, s47
	s_mul_i32 s47, s25, s47
	s_add_u32 s27, s27, s47
	s_mul_hi_u32 s46, s25, s33
	s_addc_u32 s27, s43, s48
	s_addc_u32 s43, s46, 0
	s_mul_i32 s33, s25, s33
	s_add_u32 s27, s27, s33
	s_addc_u32 s33, 0, s43
	v_add_co_u32_e32 v7, vcc, s27, v7
	s_cmp_lg_u64 vcc, 0
	s_addc_u32 s25, s25, s33
	v_readfirstlane_b32 s33, v7
	s_mul_i32 s27, s0, s25
	s_mul_hi_u32 s43, s0, s33
	s_add_i32 s27, s43, s27
	s_mul_i32 s1, s1, s33
	s_add_i32 s27, s27, s1
	s_mul_i32 s0, s0, s33
	s_mul_hi_u32 s43, s25, s0
	s_mul_i32 s46, s25, s0
	s_mul_i32 s48, s33, s27
	s_mul_hi_u32 s0, s33, s0
	s_mul_hi_u32 s47, s33, s27
	s_add_u32 s0, s0, s48
	s_addc_u32 s33, 0, s47
	s_add_u32 s0, s0, s46
	s_mul_hi_u32 s1, s25, s27
	s_addc_u32 s0, s33, s43
	s_addc_u32 s1, s1, 0
	s_mul_i32 s27, s25, s27
	s_add_u32 s0, s0, s27
	s_addc_u32 s1, 0, s1
	v_add_co_u32_e32 v7, vcc, s0, v7
	s_cmp_lg_u64 vcc, 0
	s_addc_u32 s0, s25, s1
	v_readfirstlane_b32 s27, v7
	s_mul_i32 s25, s28, s0
	s_mul_hi_u32 s33, s28, s27
	s_mul_hi_u32 s1, s28, s0
	s_add_u32 s25, s33, s25
	s_addc_u32 s1, 0, s1
	s_mul_hi_u32 s43, s29, s27
	s_mul_i32 s27, s29, s27
	s_add_u32 s25, s25, s27
	s_mul_hi_u32 s33, s29, s0
	s_addc_u32 s1, s1, s43
	s_addc_u32 s25, s33, 0
	s_mul_i32 s0, s29, s0
	s_add_u32 s27, s1, s0
	s_addc_u32 s25, 0, s25
	s_mul_i32 s0, s44, s25
	s_mul_hi_u32 s1, s44, s27
	s_add_i32 s0, s1, s0
	s_mul_i32 s1, s45, s27
	s_add_i32 s33, s0, s1
	s_mul_i32 s1, s44, s27
	v_mov_b32_e32 v7, s1
	s_sub_i32 s0, s29, s33
	v_sub_co_u32_e32 v7, vcc, s28, v7
	s_cmp_lg_u64 vcc, 0
	s_subb_u32 s43, s0, s45
	v_subrev_co_u32_e64 v8, s[0:1], s44, v7
	s_cmp_lg_u64 s[0:1], 0
	s_subb_u32 s0, s43, 0
	s_cmp_ge_u32 s0, s45
	v_readfirstlane_b32 s43, v8
	s_cselect_b32 s1, -1, 0
	s_cmp_ge_u32 s43, s44
	s_cselect_b32 s43, -1, 0
	s_cmp_eq_u32 s0, s45
	s_cselect_b32 s0, s43, s1
	s_add_u32 s1, s27, 1
	s_addc_u32 s43, s25, 0
	s_add_u32 s46, s27, 2
	s_addc_u32 s47, s25, 0
	s_cmp_lg_u32 s0, 0
	s_cselect_b32 s0, s46, s1
	s_cselect_b32 s1, s47, s43
	s_cmp_lg_u64 vcc, 0
	s_subb_u32 s33, s29, s33
	s_cmp_ge_u32 s33, s45
	v_readfirstlane_b32 s46, v7
	s_cselect_b32 s43, -1, 0
	s_cmp_ge_u32 s46, s44
	s_cselect_b32 s46, -1, 0
	s_cmp_eq_u32 s33, s45
	s_cselect_b32 s33, s46, s43
	s_cmp_lg_u32 s33, 0
	s_cselect_b32 s1, s1, s25
	s_cselect_b32 s0, s0, s27
	s_cbranch_execnz .LBB0_6
	s_branch .LBB0_10
.LBB0_9:                                ;   in Loop: Header=BB0_7 Depth=1
                                        ; implicit-def: $sgpr0_sgpr1
.LBB0_10:                               ;   in Loop: Header=BB0_7 Depth=1
	v_cvt_f32_u32_e32 v7, s44
	s_sub_i32 s0, 0, s44
	v_rcp_iflag_f32_e32 v7, v7
	v_mul_f32_e32 v7, 0x4f7ffffe, v7
	v_cvt_u32_f32_e32 v7, v7
	v_readfirstlane_b32 s1, v7
	s_mul_i32 s0, s0, s1
	s_mul_hi_u32 s0, s1, s0
	s_add_i32 s1, s1, s0
	s_mul_hi_u32 s0, s28, s1
	s_mul_i32 s25, s0, s44
	s_sub_i32 s25, s28, s25
	s_add_i32 s1, s0, 1
	s_sub_i32 s27, s25, s44
	s_cmp_ge_u32 s25, s44
	s_cselect_b32 s0, s1, s0
	s_cselect_b32 s25, s27, s25
	s_add_i32 s1, s0, 1
	s_cmp_ge_u32 s25, s44
	s_cselect_b32 s0, s1, s0
	s_mov_b32 s1, s42
	s_branch .LBB0_6
.LBB0_11:
	v_mov_b32_e32 v3, s34
	v_mov_b32_e32 v4, s35
	v_cmp_lt_u64_e32 vcc, s[6:7], v[3:4]
	s_mov_b64 s[28:29], 0
	s_cbranch_vccnz .LBB0_13
; %bb.12:
	v_cvt_f32_u32_e32 v3, s34
	s_sub_i32 s0, 0, s34
	v_rcp_iflag_f32_e32 v3, v3
	v_mul_f32_e32 v3, 0x4f7ffffe, v3
	v_cvt_u32_f32_e32 v3, v3
	v_readfirstlane_b32 s1, v3
	s_mul_i32 s0, s0, s1
	s_mul_hi_u32 s0, s1, s0
	s_add_i32 s1, s1, s0
	s_mul_hi_u32 s0, s6, s1
	s_mul_i32 s7, s0, s34
	s_sub_i32 s6, s6, s7
	s_add_i32 s1, s0, 1
	s_sub_i32 s7, s6, s34
	s_cmp_ge_u32 s6, s34
	s_cselect_b32 s0, s1, s0
	s_cselect_b32 s6, s7, s6
	s_add_i32 s1, s0, 1
	s_cmp_ge_u32 s6, s34
	s_cselect_b32 s28, s1, s0
.LBB0_13:
	s_lshl_b64 s[0:1], s[10:11], 3
	s_add_u32 s6, s14, s0
	s_addc_u32 s7, s15, s1
	s_load_dword s10, s[6:7], 0x0
	s_add_u32 s6, s2, s0
	s_addc_u32 s7, s3, s1
	s_add_u32 s0, s4, 8
	s_addc_u32 s1, s5, 0
	s_waitcnt lgkmcnt(0)
	s_mul_i32 s10, s10, s28
	v_add_u32_e32 v7, s10, v5
	v_mov_b32_e32 v5, s30
	v_mov_b32_e32 v6, s31
	v_and_b32_e32 v20, 7, v0
	v_cmp_le_u64_e32 vcc, s[0:1], v[5:6]
	s_movk_i32 s0, 0x9f
	v_or_b32_e32 v3, s4, v20
	v_mov_b32_e32 v4, s5
	v_cmp_lt_u32_e64 s[4:5], s0, v0
	s_movk_i32 s0, 0xa0
	v_lshrrev_b32_e32 v21, 3, v0
	v_cmp_gt_u32_e64 s[2:3], s0, v0
	v_cmp_gt_u64_e64 s[0:1], s[30:31], v[3:4]
	v_mul_lo_u32 v6, s26, v20
	v_mul_lo_u32 v5, s24, v21
	v_cndmask_b32_e64 v8, 0, 1, s[2:3]
	v_cndmask_b32_e64 v4, 0, 1, s[0:1]
	s_or_b64 s[4:5], s[4:5], vcc
	v_cndmask_b32_e64 v4, v4, v8, s[4:5]
	v_and_b32_e32 v4, 1, v4
	v_add_lshl_u32 v5, v6, v5, 3
	v_cmp_eq_u32_e64 s[4:5], 1, v4
	v_add_u32_e32 v4, 20, v21
	v_lshlrev_b32_e32 v7, 3, v7
	v_cndmask_b32_e64 v8, -1, v5, s[4:5]
	v_mul_lo_u32 v4, s24, v4
	v_add_u32_e32 v5, 40, v21
	v_readfirstlane_b32 s10, v7
	v_mul_lo_u32 v5, s24, v5
	v_add_u32_e32 v7, 60, v21
	v_mul_lo_u32 v7, s24, v7
	v_add_lshl_u32 v4, v6, v4, 3
	v_cndmask_b32_e64 v9, -1, v4, s[4:5]
	v_add_lshl_u32 v4, v6, v5, 3
	v_cndmask_b32_e64 v10, -1, v4, s[4:5]
	;; [unrolled: 2-line block ×3, first 2 shown]
	v_add_u32_e32 v4, 0x50, v21
	v_mul_lo_u32 v11, s24, v4
	s_mov_b32 s15, 0x20000
	s_mov_b32 s14, -2
	s_mov_b32 s12, s20
	v_add_lshl_u32 v6, v6, v11, 3
	s_mov_b32 s13, s21
	v_cndmask_b32_e64 v6, -1, v6, s[4:5]
	buffer_load_dwordx2 v[4:5], v8, s[12:15], s10 offen
	buffer_load_dwordx2 v[12:13], v9, s[12:15], s10 offen
	;; [unrolled: 1-line block ×5, first 2 shown]
	s_waitcnt vmcnt(3)
	v_add_f32_e32 v6, v4, v12
	s_waitcnt vmcnt(2)
	v_sub_f32_e32 v8, v12, v14
	s_waitcnt vmcnt(1)
	v_add_f32_e32 v7, v14, v16
	s_waitcnt vmcnt(0)
	v_sub_f32_e32 v9, v18, v16
	v_sub_f32_e32 v10, v14, v12
	;; [unrolled: 1-line block ×3, first 2 shown]
	v_add_f32_e32 v23, v12, v18
	v_add_f32_e32 v8, v8, v9
	v_fma_f32 v24, -0.5, v7, v4
	v_add_f32_e32 v9, v10, v11
	v_fma_f32 v11, -0.5, v23, v4
	v_sub_f32_e32 v22, v13, v19
	v_sub_f32_e32 v25, v15, v17
	v_mov_b32_e32 v7, v24
	v_mov_b32_e32 v10, v11
	v_add_f32_e32 v6, v6, v14
	v_fmac_f32_e32 v24, 0xbf737871, v22
	v_fmac_f32_e32 v11, 0x3f737871, v25
	v_fmac_f32_e32 v7, 0x3f737871, v22
	v_fmac_f32_e32 v10, 0xbf737871, v25
	v_add_f32_e32 v4, v6, v16
	v_fmac_f32_e32 v24, 0xbf167918, v25
	v_fmac_f32_e32 v11, 0xbf167918, v22
	v_fmac_f32_e32 v7, 0x3f167918, v25
	v_fmac_f32_e32 v10, 0x3f167918, v22
	;; [unrolled: 5-line block ×3, first 2 shown]
	v_lshlrev_b32_e32 v22, 2, v20
	s_and_saveexec_b64 s[4:5], s[2:3]
	s_cbranch_execz .LBB0_15
; %bb.14:
	v_mul_u32_u24_e32 v4, 0xa0, v21
	v_add3_u32 v4, 0, v4, v22
	ds_write2_b32 v4, v6, v7 offset1:8
	ds_write2_b32 v4, v10, v11 offset0:16 offset1:24
	ds_write_b32 v4, v24 offset:128
.LBB0_15:
	s_or_b64 exec, exec, s[4:5]
	v_lshlrev_b32_e32 v23, 5, v21
	s_waitcnt lgkmcnt(0)
	s_barrier
	s_and_saveexec_b64 s[4:5], s[2:3]
	s_cbranch_execz .LBB0_17
; %bb.16:
	v_add3_u32 v4, 0, v23, v22
	v_add_u32_e32 v8, 0x400, v4
	ds_read2_b32 v[6:7], v4 offset1:160
	ds_read2_b32 v[10:11], v8 offset0:64 offset1:224
	ds_read_b32 v24, v4 offset:2560
.LBB0_17:
	s_or_b64 exec, exec, s[4:5]
	v_add_f32_e32 v4, v5, v13
	v_add_f32_e32 v4, v4, v15
	;; [unrolled: 1-line block ×5, first 2 shown]
	v_fma_f32 v25, -0.5, v4, v5
	v_sub_f32_e32 v12, v12, v18
	v_mov_b32_e32 v9, v25
	v_fmac_f32_e32 v9, 0xbf737871, v12
	v_sub_f32_e32 v14, v14, v16
	v_sub_f32_e32 v4, v13, v15
	;; [unrolled: 1-line block ×3, first 2 shown]
	v_fmac_f32_e32 v25, 0x3f737871, v12
	v_fmac_f32_e32 v9, 0xbf167918, v14
	v_add_f32_e32 v4, v4, v16
	v_fmac_f32_e32 v25, 0x3f167918, v14
	v_fmac_f32_e32 v9, 0x3e9e377a, v4
	;; [unrolled: 1-line block ×3, first 2 shown]
	v_add_f32_e32 v4, v13, v19
	v_fmac_f32_e32 v5, -0.5, v4
	v_mov_b32_e32 v4, v5
	v_fmac_f32_e32 v4, 0x3f737871, v14
	v_sub_f32_e32 v13, v15, v13
	v_sub_f32_e32 v15, v17, v19
	v_fmac_f32_e32 v5, 0xbf737871, v14
	v_fmac_f32_e32 v4, 0xbf167918, v12
	v_add_f32_e32 v13, v13, v15
	v_fmac_f32_e32 v5, 0x3f167918, v12
	v_fmac_f32_e32 v4, 0x3e9e377a, v13
	;; [unrolled: 1-line block ×3, first 2 shown]
	s_waitcnt lgkmcnt(0)
	s_barrier
	s_and_saveexec_b64 s[4:5], s[2:3]
	s_cbranch_execz .LBB0_19
; %bb.18:
	v_mul_u32_u24_e32 v12, 0xa0, v21
	v_add3_u32 v12, 0, v12, v22
	ds_write2_b32 v12, v8, v9 offset1:8
	ds_write2_b32 v12, v4, v5 offset0:16 offset1:24
	ds_write_b32 v12, v25 offset:128
.LBB0_19:
	s_or_b64 exec, exec, s[4:5]
	s_waitcnt lgkmcnt(0)
	s_barrier
	s_and_saveexec_b64 s[4:5], s[2:3]
	s_cbranch_execz .LBB0_21
; %bb.20:
	v_add3_u32 v12, 0, v23, v22
	v_add_u32_e32 v4, 0x400, v12
	ds_read2_b32 v[8:9], v12 offset1:160
	ds_read2_b32 v[4:5], v4 offset0:64 offset1:224
	ds_read_b32 v25, v12 offset:2560
.LBB0_21:
	s_or_b64 exec, exec, s[4:5]
	s_mov_b32 s4, 0x33333334
	v_mul_hi_u32 v12, v21, s4
	v_mul_u32_u24_e32 v12, 5, v12
	v_sub_u32_e32 v12, v21, v12
	v_lshlrev_b32_e32 v13, 5, v12
	global_load_dwordx4 v[26:29], v13, s[8:9]
	global_load_dwordx4 v[30:33], v13, s[8:9] offset:16
	s_waitcnt vmcnt(0) lgkmcnt(0)
	s_barrier
	v_mul_f32_e32 v17, v9, v27
	v_mul_f32_e32 v13, v7, v27
	v_mul_f32_e32 v18, v4, v29
	v_mul_f32_e32 v14, v10, v29
	v_mul_f32_e32 v19, v5, v31
	v_mul_f32_e32 v15, v11, v31
	v_mul_f32_e32 v27, v25, v33
	v_mul_f32_e32 v16, v24, v33
	v_fma_f32 v17, v7, v26, -v17
	v_fmac_f32_e32 v13, v9, v26
	v_fma_f32 v10, v10, v28, -v18
	v_fmac_f32_e32 v14, v4, v28
	;; [unrolled: 2-line block ×4, first 2 shown]
	s_and_saveexec_b64 s[4:5], s[2:3]
	s_cbranch_execz .LBB0_23
; %bb.22:
	v_sub_f32_e32 v4, v10, v17
	v_sub_f32_e32 v5, v11, v18
	v_add_f32_e32 v4, v4, v5
	v_add_f32_e32 v5, v17, v18
	v_fma_f32 v5, -0.5, v5, v6
	v_sub_f32_e32 v7, v14, v15
	v_mov_b32_e32 v9, v5
	v_fmac_f32_e32 v9, 0x3f737871, v7
	v_sub_f32_e32 v19, v13, v16
	v_fmac_f32_e32 v5, 0xbf737871, v7
	v_fmac_f32_e32 v9, 0xbf167918, v19
	;; [unrolled: 1-line block ×5, first 2 shown]
	v_sub_f32_e32 v4, v17, v10
	v_sub_f32_e32 v24, v18, v11
	v_add_f32_e32 v4, v4, v24
	v_add_f32_e32 v24, v10, v11
	v_fma_f32 v24, -0.5, v24, v6
	v_mov_b32_e32 v25, v24
	v_fmac_f32_e32 v25, 0xbf737871, v19
	v_fmac_f32_e32 v24, 0x3f737871, v19
	;; [unrolled: 1-line block ×6, first 2 shown]
	v_add_f32_e32 v4, v6, v17
	v_mul_lo_u16_e32 v6, 52, v21
	v_mov_b32_e32 v7, 25
	v_add_f32_e32 v4, v4, v10
	v_mul_lo_u16_sdwa v6, v6, v7 dst_sel:DWORD dst_unused:UNUSED_PAD src0_sel:BYTE_1 src1_sel:DWORD
	v_add_f32_e32 v4, v4, v11
	v_add_lshl_u32 v6, v12, v6, 5
	v_add_f32_e32 v4, v4, v18
	v_add3_u32 v6, 0, v6, v22
	ds_write2_b32 v6, v4, v24 offset1:40
	ds_write2_b32 v6, v5, v9 offset0:80 offset1:120
	ds_write_b32 v6, v25 offset:640
.LBB0_23:
	s_or_b64 exec, exec, s[4:5]
	v_add3_u32 v9, 0, v23, v22
	v_add_u32_e32 v6, 0x600, v9
	s_waitcnt lgkmcnt(0)
	s_barrier
	ds_read2_b32 v[4:5], v9 offset1:200
	ds_read2_b32 v[6:7], v6 offset0:16 offset1:216
	s_waitcnt lgkmcnt(0)
	s_barrier
	s_and_saveexec_b64 s[4:5], s[2:3]
	s_cbranch_execz .LBB0_25
; %bb.24:
	v_add_f32_e32 v23, v14, v15
	v_fma_f32 v23, -0.5, v23, v8
	v_sub_f32_e32 v17, v17, v18
	v_mov_b32_e32 v18, v23
	v_fmac_f32_e32 v18, 0xbf737871, v17
	v_sub_f32_e32 v10, v10, v11
	v_sub_f32_e32 v11, v13, v14
	;; [unrolled: 1-line block ×3, first 2 shown]
	v_fmac_f32_e32 v23, 0x3f737871, v17
	v_fmac_f32_e32 v18, 0xbf167918, v10
	v_add_f32_e32 v11, v11, v24
	v_fmac_f32_e32 v23, 0x3f167918, v10
	v_fmac_f32_e32 v18, 0x3e9e377a, v11
	;; [unrolled: 1-line block ×3, first 2 shown]
	v_add_f32_e32 v11, v13, v16
	v_add_f32_e32 v19, v8, v13
	v_fmac_f32_e32 v8, -0.5, v11
	v_mov_b32_e32 v11, v8
	v_add_f32_e32 v19, v19, v14
	v_fmac_f32_e32 v11, 0x3f737871, v10
	v_sub_f32_e32 v13, v14, v13
	v_sub_f32_e32 v14, v15, v16
	v_fmac_f32_e32 v8, 0xbf737871, v10
	v_fmac_f32_e32 v11, 0xbf167918, v17
	v_add_f32_e32 v13, v13, v14
	v_fmac_f32_e32 v8, 0x3f167918, v17
	v_fmac_f32_e32 v11, 0x3e9e377a, v13
	;; [unrolled: 1-line block ×3, first 2 shown]
	v_mul_lo_u16_e32 v10, 52, v21
	v_mov_b32_e32 v13, 25
	v_mul_lo_u16_sdwa v10, v10, v13 dst_sel:DWORD dst_unused:UNUSED_PAD src0_sel:BYTE_1 src1_sel:DWORD
	v_add_f32_e32 v19, v19, v15
	v_add_lshl_u32 v10, v12, v10, 5
	v_add_f32_e32 v19, v19, v16
	v_add3_u32 v10, 0, v10, v22
	ds_write2_b32 v10, v19, v18 offset1:40
	ds_write2_b32 v10, v11, v8 offset0:80 offset1:120
	ds_write_b32 v10, v23 offset:640
.LBB0_25:
	s_or_b64 exec, exec, s[4:5]
	s_or_b64 s[0:1], vcc, s[0:1]
	s_waitcnt lgkmcnt(0)
	s_barrier
	s_and_saveexec_b64 s[2:3], s[0:1]
	s_cbranch_execz .LBB0_27
; %bb.26:
	s_mov_b32 s0, 0xa3d70a4
	v_mul_hi_u32 v8, v21, s0
	s_movk_i32 s0, 0xffe7
	v_mul_lo_u32 v18, v3, s0
	s_add_i32 s0, 0, 0xc80
	v_mul_u32_u24_e32 v8, 25, v8
	v_sub_u32_e32 v31, v21, v8
	v_add_u32_e32 v8, 0x4b, v31
	v_mul_lo_u32 v8, v8, v3
	v_mul_lo_u32 v3, v31, v3
	v_lshrrev_b32_e32 v11, 3, v8
	v_and_b32_e32 v10, 63, v8
	v_and_b32_e32 v11, 0x1f8, v11
	v_lshl_add_u32 v10, v10, 3, 0
	v_add_u32_e32 v12, s0, v11
	ds_read_b64 v[10:11], v10 offset:3200
	ds_read_b64 v[12:13], v12 offset:512
	v_add_u32_e32 v19, v8, v18
	v_lshrrev_b32_e32 v8, 9, v8
	v_lshrrev_b32_e32 v14, 9, v19
	v_and_b32_e32 v8, 0x1f8, v8
	v_and_b32_e32 v14, 0x1f8, v14
	v_add_u32_e32 v8, s0, v8
	v_add_u32_e32 v14, s0, v14
	ds_read_b64 v[14:15], v14 offset:1024
	ds_read_b64 v[16:17], v8 offset:1024
	s_waitcnt lgkmcnt(2)
	v_mul_f32_e32 v8, v11, v13
	v_mul_f32_e32 v32, v10, v13
	v_fma_f32 v33, v10, v12, -v8
	v_lshrrev_b32_e32 v10, 3, v19
	v_and_b32_e32 v21, 63, v19
	v_and_b32_e32 v10, 0x1f8, v10
	v_fmac_f32_e32 v32, v11, v12
	v_lshl_add_u32 v8, v21, 3, 0
	v_add_u32_e32 v12, s0, v10
	ds_read_b64 v[10:11], v8 offset:3200
	ds_read_b64 v[12:13], v12 offset:512
	v_add_u32_e32 v8, v19, v18
	v_and_b32_e32 v18, 63, v8
	v_lshrrev_b32_e32 v19, 9, v8
	v_lshrrev_b32_e32 v8, 3, v8
	s_waitcnt lgkmcnt(0)
	v_mul_f32_e32 v23, v11, v13
	v_fma_f32 v34, v10, v12, -v23
	v_mul_f32_e32 v35, v10, v13
	v_lshrrev_b32_e32 v10, 9, v3
	v_and_b32_e32 v19, 0x1f8, v19
	v_and_b32_e32 v8, 0x1f8, v8
	;; [unrolled: 1-line block ×3, first 2 shown]
	v_lshl_add_u32 v18, v18, 3, 0
	v_add_u32_e32 v21, s0, v19
	v_fmac_f32_e32 v35, v11, v12
	v_add_u32_e32 v8, s0, v8
	v_add_u32_e32 v12, s0, v10
	v_and_b32_e32 v10, 63, v3
	ds_read_b64 v[18:19], v18 offset:3200
	ds_read_b64 v[21:22], v21 offset:1024
	v_lshl_add_u32 v13, v10, 3, 0
	ds_read_b64 v[10:11], v8 offset:512
	v_lshrrev_b32_e32 v3, 3, v3
	v_and_b32_e32 v3, 0x1f8, v3
	v_add_u32_e32 v3, s0, v3
	ds_read_b64 v[23:24], v12 offset:1024
	ds_read_b64 v[25:26], v13 offset:3200
	;; [unrolled: 1-line block ×3, first 2 shown]
	s_waitcnt lgkmcnt(3)
	v_mul_f32_e32 v3, v19, v11
	v_mul_f32_e32 v36, v18, v11
	v_mul_u32_u24_e32 v8, 3, v31
	v_fma_f32 v3, v18, v10, -v3
	v_fmac_f32_e32 v36, v19, v10
	v_lshlrev_b32_e32 v8, 3, v8
	v_add_u32_e32 v10, 0x600, v9
	ds_read2_b32 v[18:19], v10 offset0:16 offset1:216
	global_load_dwordx2 v[29:30], v8, s[8:9] offset:176
	global_load_dwordx4 v[10:13], v8, s[8:9] offset:160
	ds_read2_b32 v[8:9], v9 offset1:200
	s_load_dwordx2 s[0:1], s[6:7], 0x0
	s_waitcnt lgkmcnt(0)
	s_mul_i32 s1, s1, s28
	s_mul_hi_u32 s2, s0, s28
	s_add_i32 s1, s2, s1
	s_mov_b32 s2, 0x147ae15
	v_mul_hi_u32 v0, v0, s2
	s_mul_i32 s0, s0, s28
	s_lshl_b64 s[0:1], s[0:1], 3
	s_add_u32 s0, s22, s0
	s_addc_u32 s1, s23, s1
	s_waitcnt vmcnt(0)
	v_mul_f32_e32 v38, v9, v11
	v_mul_f32_e32 v37, v6, v13
	v_fma_f32 v38, v5, v10, -v38
	v_mul_f32_e32 v13, v18, v13
	v_mul_f32_e32 v11, v5, v11
	;; [unrolled: 1-line block ×3, first 2 shown]
	v_fmac_f32_e32 v37, v18, v12
	v_fma_f32 v6, v6, v12, -v13
	v_fma_f32 v5, v7, v29, -v5
	v_mul_f32_e32 v7, v7, v30
	v_mul_f32_e32 v12, v35, v15
	v_mul_f32_e32 v13, v34, v15
	v_fmac_f32_e32 v11, v9, v10
	v_fmac_f32_e32 v7, v19, v29
	v_mul_f32_e32 v9, v32, v17
	v_mul_f32_e32 v10, v33, v17
	v_fma_f32 v12, v14, v34, -v12
	v_fmac_f32_e32 v13, v14, v35
	v_mul_f32_e32 v14, v36, v22
	v_fma_f32 v9, v16, v33, -v9
	v_fmac_f32_e32 v10, v16, v32
	v_fma_f32 v14, v21, v3, -v14
	v_mul_f32_e32 v15, v3, v22
	v_sub_f32_e32 v16, v8, v37
	v_sub_f32_e32 v3, v38, v5
	;; [unrolled: 1-line block ×4, first 2 shown]
	v_add_f32_e32 v18, v16, v3
	v_sub_f32_e32 v19, v17, v7
	v_mul_f32_e32 v5, v18, v10
	v_mul_f32_e32 v6, v19, v10
	v_fma_f32 v5, v19, v9, -v5
	v_fmac_f32_e32 v6, v18, v9
	v_fma_f32 v9, v8, 2.0, -v16
	v_fma_f32 v7, v11, 2.0, -v7
	;; [unrolled: 1-line block ×4, first 2 shown]
	v_fmac_f32_e32 v15, v21, v36
	v_sub_f32_e32 v11, v9, v7
	v_sub_f32_e32 v21, v10, v3
	v_mul_f32_e32 v3, v11, v13
	v_mul_f32_e32 v4, v21, v13
	v_fma_f32 v3, v21, v12, -v3
	v_fmac_f32_e32 v4, v11, v12
	v_fma_f32 v12, v17, 2.0, -v19
	v_fma_f32 v7, v16, 2.0, -v18
	v_mul_f32_e32 v8, v12, v15
	v_fmac_f32_e32 v8, v7, v14
	v_mul_f32_e32 v7, v7, v15
	v_fma_f32 v7, v12, v14, -v7
	v_fma_f32 v9, v9, 2.0, -v11
	v_mul_f32_e32 v11, v26, v28
	v_mul_f32_e32 v12, v25, v28
	v_fma_f32 v11, v25, v27, -v11
	v_fmac_f32_e32 v12, v26, v27
	v_mul_f32_e32 v13, v12, v24
	v_fma_f32 v19, v10, 2.0, -v21
	v_mul_f32_e32 v21, v11, v24
	v_fma_f32 v18, v23, v11, -v13
	v_fmac_f32_e32 v21, v23, v12
	v_mad_u64_u32 v[11:12], s[2:3], s18, v20, 0
	s_movk_i32 s2, 0x64
	v_mad_u32_u24 v22, v0, s2, v31
	v_mad_u64_u32 v[13:14], s[2:3], s16, v22, 0
	v_mov_b32_e32 v0, v12
	v_mad_u64_u32 v[15:16], s[2:3], s19, v20, v[0:1]
	v_mov_b32_e32 v0, v14
	v_mad_u64_u32 v[16:17], s[2:3], s17, v22, v[0:1]
	v_mul_f32_e32 v10, v19, v21
	v_mul_f32_e32 v0, v9, v21
	v_fmac_f32_e32 v10, v9, v18
	v_fma_f32 v9, v19, v18, -v0
	v_lshlrev_b64 v[0:1], 3, v[1:2]
	v_mov_b32_e32 v12, v15
	v_mov_b32_e32 v14, v16
	;; [unrolled: 1-line block ×3, first 2 shown]
	v_add_co_u32_e32 v15, vcc, s0, v0
	v_add_u32_e32 v16, 25, v22
	v_addc_co_u32_e32 v2, vcc, v2, v1, vcc
	v_lshlrev_b64 v[0:1], 3, v[11:12]
	v_mad_u64_u32 v[11:12], s[0:1], s16, v16, 0
	v_add_co_u32_e32 v15, vcc, v15, v0
	v_addc_co_u32_e32 v17, vcc, v2, v1, vcc
	v_mov_b32_e32 v2, v12
	v_lshlrev_b64 v[0:1], 3, v[13:14]
	v_mad_u64_u32 v[12:13], s[0:1], s17, v16, v[2:3]
	v_add_co_u32_e32 v0, vcc, v15, v0
	v_addc_co_u32_e32 v1, vcc, v17, v1, vcc
	global_store_dwordx2 v[0:1], v[9:10], off
	v_lshlrev_b64 v[0:1], 3, v[11:12]
	v_add_u32_e32 v11, 50, v22
	v_mad_u64_u32 v[9:10], s[0:1], s16, v11, 0
	v_add_u32_e32 v13, 0x4b, v22
	v_add_co_u32_e32 v0, vcc, v15, v0
	v_mov_b32_e32 v2, v10
	v_mad_u64_u32 v[10:11], s[0:1], s17, v11, v[2:3]
	v_mad_u64_u32 v[11:12], s[0:1], s16, v13, 0
	v_addc_co_u32_e32 v1, vcc, v17, v1, vcc
	v_mov_b32_e32 v2, v12
	global_store_dwordx2 v[0:1], v[7:8], off
	v_mad_u64_u32 v[7:8], s[0:1], s17, v13, v[2:3]
	v_lshlrev_b64 v[0:1], 3, v[9:10]
	v_add_co_u32_e32 v0, vcc, v15, v0
	v_addc_co_u32_e32 v1, vcc, v17, v1, vcc
	v_mov_b32_e32 v12, v7
	global_store_dwordx2 v[0:1], v[3:4], off
	v_lshlrev_b64 v[0:1], 3, v[11:12]
	v_add_co_u32_e32 v0, vcc, v15, v0
	v_addc_co_u32_e32 v1, vcc, v17, v1, vcc
	global_store_dwordx2 v[0:1], v[5:6], off
.LBB0_27:
	s_endpgm
	.section	.rodata,"a",@progbits
	.p2align	6, 0x0
	.amdhsa_kernel fft_rtc_fwd_len100_factors_5_5_4_wgs_200_tpt_25_halfLds_sp_op_CI_CI_sbcc_twdbase6_3step_dirReg_intrinsicRead
		.amdhsa_group_segment_fixed_size 0
		.amdhsa_private_segment_fixed_size 0
		.amdhsa_kernarg_size 112
		.amdhsa_user_sgpr_count 6
		.amdhsa_user_sgpr_private_segment_buffer 1
		.amdhsa_user_sgpr_dispatch_ptr 0
		.amdhsa_user_sgpr_queue_ptr 0
		.amdhsa_user_sgpr_kernarg_segment_ptr 1
		.amdhsa_user_sgpr_dispatch_id 0
		.amdhsa_user_sgpr_flat_scratch_init 0
		.amdhsa_user_sgpr_private_segment_size 0
		.amdhsa_uses_dynamic_stack 0
		.amdhsa_system_sgpr_private_segment_wavefront_offset 0
		.amdhsa_system_sgpr_workgroup_id_x 1
		.amdhsa_system_sgpr_workgroup_id_y 0
		.amdhsa_system_sgpr_workgroup_id_z 0
		.amdhsa_system_sgpr_workgroup_info 0
		.amdhsa_system_vgpr_workitem_id 0
		.amdhsa_next_free_vgpr 39
		.amdhsa_next_free_sgpr 49
		.amdhsa_reserve_vcc 1
		.amdhsa_reserve_flat_scratch 0
		.amdhsa_float_round_mode_32 0
		.amdhsa_float_round_mode_16_64 0
		.amdhsa_float_denorm_mode_32 3
		.amdhsa_float_denorm_mode_16_64 3
		.amdhsa_dx10_clamp 1
		.amdhsa_ieee_mode 1
		.amdhsa_fp16_overflow 0
		.amdhsa_exception_fp_ieee_invalid_op 0
		.amdhsa_exception_fp_denorm_src 0
		.amdhsa_exception_fp_ieee_div_zero 0
		.amdhsa_exception_fp_ieee_overflow 0
		.amdhsa_exception_fp_ieee_underflow 0
		.amdhsa_exception_fp_ieee_inexact 0
		.amdhsa_exception_int_div_zero 0
	.end_amdhsa_kernel
	.text
.Lfunc_end0:
	.size	fft_rtc_fwd_len100_factors_5_5_4_wgs_200_tpt_25_halfLds_sp_op_CI_CI_sbcc_twdbase6_3step_dirReg_intrinsicRead, .Lfunc_end0-fft_rtc_fwd_len100_factors_5_5_4_wgs_200_tpt_25_halfLds_sp_op_CI_CI_sbcc_twdbase6_3step_dirReg_intrinsicRead
                                        ; -- End function
	.section	.AMDGPU.csdata,"",@progbits
; Kernel info:
; codeLenInByte = 4120
; NumSgprs: 53
; NumVgprs: 39
; ScratchSize: 0
; MemoryBound: 0
; FloatMode: 240
; IeeeMode: 1
; LDSByteSize: 0 bytes/workgroup (compile time only)
; SGPRBlocks: 6
; VGPRBlocks: 9
; NumSGPRsForWavesPerEU: 53
; NumVGPRsForWavesPerEU: 39
; Occupancy: 6
; WaveLimiterHint : 1
; COMPUTE_PGM_RSRC2:SCRATCH_EN: 0
; COMPUTE_PGM_RSRC2:USER_SGPR: 6
; COMPUTE_PGM_RSRC2:TRAP_HANDLER: 0
; COMPUTE_PGM_RSRC2:TGID_X_EN: 1
; COMPUTE_PGM_RSRC2:TGID_Y_EN: 0
; COMPUTE_PGM_RSRC2:TGID_Z_EN: 0
; COMPUTE_PGM_RSRC2:TIDIG_COMP_CNT: 0
	.type	__hip_cuid_7d76d8c6862933c1,@object ; @__hip_cuid_7d76d8c6862933c1
	.section	.bss,"aw",@nobits
	.globl	__hip_cuid_7d76d8c6862933c1
__hip_cuid_7d76d8c6862933c1:
	.byte	0                               ; 0x0
	.size	__hip_cuid_7d76d8c6862933c1, 1

	.ident	"AMD clang version 19.0.0git (https://github.com/RadeonOpenCompute/llvm-project roc-6.4.0 25133 c7fe45cf4b819c5991fe208aaa96edf142730f1d)"
	.section	".note.GNU-stack","",@progbits
	.addrsig
	.addrsig_sym __hip_cuid_7d76d8c6862933c1
	.amdgpu_metadata
---
amdhsa.kernels:
  - .args:
      - .actual_access:  read_only
        .address_space:  global
        .offset:         0
        .size:           8
        .value_kind:     global_buffer
      - .address_space:  global
        .offset:         8
        .size:           8
        .value_kind:     global_buffer
      - .offset:         16
        .size:           8
        .value_kind:     by_value
      - .actual_access:  read_only
        .address_space:  global
        .offset:         24
        .size:           8
        .value_kind:     global_buffer
      - .actual_access:  read_only
        .address_space:  global
        .offset:         32
        .size:           8
        .value_kind:     global_buffer
      - .actual_access:  read_only
        .address_space:  global
        .offset:         40
        .size:           8
        .value_kind:     global_buffer
      - .offset:         48
        .size:           8
        .value_kind:     by_value
      - .actual_access:  read_only
        .address_space:  global
        .offset:         56
        .size:           8
        .value_kind:     global_buffer
      - .actual_access:  read_only
        .address_space:  global
        .offset:         64
        .size:           8
        .value_kind:     global_buffer
      - .offset:         72
        .size:           4
        .value_kind:     by_value
      - .actual_access:  read_only
        .address_space:  global
        .offset:         80
        .size:           8
        .value_kind:     global_buffer
      - .actual_access:  read_only
        .address_space:  global
        .offset:         88
        .size:           8
        .value_kind:     global_buffer
      - .address_space:  global
        .offset:         96
        .size:           8
        .value_kind:     global_buffer
      - .actual_access:  write_only
        .address_space:  global
        .offset:         104
        .size:           8
        .value_kind:     global_buffer
    .group_segment_fixed_size: 0
    .kernarg_segment_align: 8
    .kernarg_segment_size: 112
    .language:       OpenCL C
    .language_version:
      - 2
      - 0
    .max_flat_workgroup_size: 200
    .name:           fft_rtc_fwd_len100_factors_5_5_4_wgs_200_tpt_25_halfLds_sp_op_CI_CI_sbcc_twdbase6_3step_dirReg_intrinsicRead
    .private_segment_fixed_size: 0
    .sgpr_count:     53
    .sgpr_spill_count: 0
    .symbol:         fft_rtc_fwd_len100_factors_5_5_4_wgs_200_tpt_25_halfLds_sp_op_CI_CI_sbcc_twdbase6_3step_dirReg_intrinsicRead.kd
    .uniform_work_group_size: 1
    .uses_dynamic_stack: false
    .vgpr_count:     39
    .vgpr_spill_count: 0
    .wavefront_size: 64
amdhsa.target:   amdgcn-amd-amdhsa--gfx906
amdhsa.version:
  - 1
  - 2
...

	.end_amdgpu_metadata
